;; amdgpu-corpus repo=ROCm/rocFFT kind=compiled arch=gfx1201 opt=O3
	.text
	.amdgcn_target "amdgcn-amd-amdhsa--gfx1201"
	.amdhsa_code_object_version 6
	.protected	fft_rtc_back_len2304_factors_6_6_4_4_4_wgs_192_tpt_192_halfLds_sp_op_CI_CI_unitstride_sbrr_C2R_dirReg ; -- Begin function fft_rtc_back_len2304_factors_6_6_4_4_4_wgs_192_tpt_192_halfLds_sp_op_CI_CI_unitstride_sbrr_C2R_dirReg
	.globl	fft_rtc_back_len2304_factors_6_6_4_4_4_wgs_192_tpt_192_halfLds_sp_op_CI_CI_unitstride_sbrr_C2R_dirReg
	.p2align	8
	.type	fft_rtc_back_len2304_factors_6_6_4_4_4_wgs_192_tpt_192_halfLds_sp_op_CI_CI_unitstride_sbrr_C2R_dirReg,@function
fft_rtc_back_len2304_factors_6_6_4_4_4_wgs_192_tpt_192_halfLds_sp_op_CI_CI_unitstride_sbrr_C2R_dirReg: ; @fft_rtc_back_len2304_factors_6_6_4_4_4_wgs_192_tpt_192_halfLds_sp_op_CI_CI_unitstride_sbrr_C2R_dirReg
; %bb.0:
	s_clause 0x2
	s_load_b128 s[8:11], s[0:1], 0x0
	s_load_b128 s[4:7], s[0:1], 0x58
	;; [unrolled: 1-line block ×3, first 2 shown]
	v_mul_u32_u24_e32 v1, 0x156, v0
	v_mov_b32_e32 v3, 0
	v_mov_b32_e32 v7, 0
	;; [unrolled: 1-line block ×3, first 2 shown]
	s_delay_alu instid0(VALU_DEP_4) | instskip(NEXT) | instid1(VALU_DEP_1)
	v_lshrrev_b32_e32 v1, 16, v1
	v_dual_mov_b32 v10, v3 :: v_dual_add_nc_u32 v9, ttmp9, v1
	s_wait_kmcnt 0x0
	v_cmp_lt_u64_e64 s2, s[10:11], 2
	s_delay_alu instid0(VALU_DEP_1)
	s_and_b32 vcc_lo, exec_lo, s2
	s_cbranch_vccnz .LBB0_8
; %bb.1:
	s_load_b64 s[2:3], s[0:1], 0x10
	v_mov_b32_e32 v7, 0
	v_mov_b32_e32 v8, 0
	s_delay_alu instid0(VALU_DEP_2)
	v_mov_b32_e32 v1, v7
	s_add_nc_u64 s[16:17], s[14:15], 8
	s_add_nc_u64 s[18:19], s[12:13], 8
	s_mov_b64 s[20:21], 1
	v_mov_b32_e32 v2, v8
	s_wait_kmcnt 0x0
	s_add_nc_u64 s[22:23], s[2:3], 8
	s_mov_b32 s3, 0
.LBB0_2:                                ; =>This Inner Loop Header: Depth=1
	s_load_b64 s[24:25], s[22:23], 0x0
                                        ; implicit-def: $vgpr5_vgpr6
	s_mov_b32 s2, exec_lo
	s_wait_kmcnt 0x0
	v_or_b32_e32 v4, s25, v10
	s_delay_alu instid0(VALU_DEP_1)
	v_cmpx_ne_u64_e32 0, v[3:4]
	s_wait_alu 0xfffe
	s_xor_b32 s26, exec_lo, s2
	s_cbranch_execz .LBB0_4
; %bb.3:                                ;   in Loop: Header=BB0_2 Depth=1
	s_cvt_f32_u32 s2, s24
	s_cvt_f32_u32 s27, s25
	s_sub_nc_u64 s[30:31], 0, s[24:25]
	s_wait_alu 0xfffe
	s_delay_alu instid0(SALU_CYCLE_1) | instskip(SKIP_1) | instid1(SALU_CYCLE_2)
	s_fmamk_f32 s2, s27, 0x4f800000, s2
	s_wait_alu 0xfffe
	v_s_rcp_f32 s2, s2
	s_delay_alu instid0(TRANS32_DEP_1) | instskip(SKIP_1) | instid1(SALU_CYCLE_2)
	s_mul_f32 s2, s2, 0x5f7ffffc
	s_wait_alu 0xfffe
	s_mul_f32 s27, s2, 0x2f800000
	s_wait_alu 0xfffe
	s_delay_alu instid0(SALU_CYCLE_2) | instskip(SKIP_1) | instid1(SALU_CYCLE_2)
	s_trunc_f32 s27, s27
	s_wait_alu 0xfffe
	s_fmamk_f32 s2, s27, 0xcf800000, s2
	s_cvt_u32_f32 s29, s27
	s_wait_alu 0xfffe
	s_delay_alu instid0(SALU_CYCLE_1) | instskip(SKIP_1) | instid1(SALU_CYCLE_2)
	s_cvt_u32_f32 s28, s2
	s_wait_alu 0xfffe
	s_mul_u64 s[34:35], s[30:31], s[28:29]
	s_wait_alu 0xfffe
	s_mul_hi_u32 s37, s28, s35
	s_mul_i32 s36, s28, s35
	s_mul_hi_u32 s2, s28, s34
	s_mul_i32 s33, s29, s34
	s_wait_alu 0xfffe
	s_add_nc_u64 s[36:37], s[2:3], s[36:37]
	s_mul_hi_u32 s27, s29, s34
	s_mul_hi_u32 s38, s29, s35
	s_add_co_u32 s2, s36, s33
	s_wait_alu 0xfffe
	s_add_co_ci_u32 s2, s37, s27
	s_mul_i32 s34, s29, s35
	s_add_co_ci_u32 s35, s38, 0
	s_wait_alu 0xfffe
	s_add_nc_u64 s[34:35], s[2:3], s[34:35]
	s_wait_alu 0xfffe
	v_add_co_u32 v4, s2, s28, s34
	s_delay_alu instid0(VALU_DEP_1) | instskip(SKIP_1) | instid1(VALU_DEP_1)
	s_cmp_lg_u32 s2, 0
	s_add_co_ci_u32 s29, s29, s35
	v_readfirstlane_b32 s28, v4
	s_wait_alu 0xfffe
	s_delay_alu instid0(VALU_DEP_1)
	s_mul_u64 s[30:31], s[30:31], s[28:29]
	s_wait_alu 0xfffe
	s_mul_hi_u32 s35, s28, s31
	s_mul_i32 s34, s28, s31
	s_mul_hi_u32 s2, s28, s30
	s_mul_i32 s33, s29, s30
	s_wait_alu 0xfffe
	s_add_nc_u64 s[34:35], s[2:3], s[34:35]
	s_mul_hi_u32 s27, s29, s30
	s_mul_hi_u32 s28, s29, s31
	s_wait_alu 0xfffe
	s_add_co_u32 s2, s34, s33
	s_add_co_ci_u32 s2, s35, s27
	s_mul_i32 s30, s29, s31
	s_add_co_ci_u32 s31, s28, 0
	s_wait_alu 0xfffe
	s_add_nc_u64 s[30:31], s[2:3], s[30:31]
	s_wait_alu 0xfffe
	v_add_co_u32 v6, s2, v4, s30
	s_delay_alu instid0(VALU_DEP_1) | instskip(SKIP_1) | instid1(VALU_DEP_1)
	s_cmp_lg_u32 s2, 0
	s_add_co_ci_u32 s2, s29, s31
	v_mul_hi_u32 v15, v9, v6
	s_wait_alu 0xfffe
	v_mad_co_u64_u32 v[4:5], null, v9, s2, 0
	v_mad_co_u64_u32 v[11:12], null, v10, v6, 0
	;; [unrolled: 1-line block ×3, first 2 shown]
	s_delay_alu instid0(VALU_DEP_3) | instskip(SKIP_1) | instid1(VALU_DEP_4)
	v_add_co_u32 v4, vcc_lo, v15, v4
	s_wait_alu 0xfffd
	v_add_co_ci_u32_e32 v5, vcc_lo, 0, v5, vcc_lo
	s_delay_alu instid0(VALU_DEP_2) | instskip(SKIP_1) | instid1(VALU_DEP_2)
	v_add_co_u32 v4, vcc_lo, v4, v11
	s_wait_alu 0xfffd
	v_add_co_ci_u32_e32 v4, vcc_lo, v5, v12, vcc_lo
	s_wait_alu 0xfffd
	v_add_co_ci_u32_e32 v5, vcc_lo, 0, v14, vcc_lo
	s_delay_alu instid0(VALU_DEP_2) | instskip(SKIP_1) | instid1(VALU_DEP_2)
	v_add_co_u32 v11, vcc_lo, v4, v13
	s_wait_alu 0xfffd
	v_add_co_ci_u32_e32 v6, vcc_lo, 0, v5, vcc_lo
	s_delay_alu instid0(VALU_DEP_2) | instskip(SKIP_1) | instid1(VALU_DEP_3)
	v_mul_lo_u32 v12, s25, v11
	v_mad_co_u64_u32 v[4:5], null, s24, v11, 0
	v_mul_lo_u32 v13, s24, v6
	s_delay_alu instid0(VALU_DEP_2) | instskip(NEXT) | instid1(VALU_DEP_2)
	v_sub_co_u32 v4, vcc_lo, v9, v4
	v_add3_u32 v5, v5, v13, v12
	s_delay_alu instid0(VALU_DEP_1) | instskip(SKIP_1) | instid1(VALU_DEP_1)
	v_sub_nc_u32_e32 v12, v10, v5
	s_wait_alu 0xfffd
	v_subrev_co_ci_u32_e64 v12, s2, s25, v12, vcc_lo
	v_add_co_u32 v13, s2, v11, 2
	s_wait_alu 0xf1ff
	v_add_co_ci_u32_e64 v14, s2, 0, v6, s2
	v_sub_co_u32 v15, s2, v4, s24
	v_sub_co_ci_u32_e32 v5, vcc_lo, v10, v5, vcc_lo
	s_wait_alu 0xf1ff
	v_subrev_co_ci_u32_e64 v12, s2, 0, v12, s2
	s_delay_alu instid0(VALU_DEP_3) | instskip(NEXT) | instid1(VALU_DEP_3)
	v_cmp_le_u32_e32 vcc_lo, s24, v15
	v_cmp_eq_u32_e64 s2, s25, v5
	s_wait_alu 0xfffd
	v_cndmask_b32_e64 v15, 0, -1, vcc_lo
	v_cmp_le_u32_e32 vcc_lo, s25, v12
	s_wait_alu 0xfffd
	v_cndmask_b32_e64 v16, 0, -1, vcc_lo
	v_cmp_le_u32_e32 vcc_lo, s24, v4
	;; [unrolled: 3-line block ×3, first 2 shown]
	s_wait_alu 0xfffd
	v_cndmask_b32_e64 v17, 0, -1, vcc_lo
	v_cmp_eq_u32_e32 vcc_lo, s25, v12
	s_wait_alu 0xf1ff
	s_delay_alu instid0(VALU_DEP_2)
	v_cndmask_b32_e64 v4, v17, v4, s2
	s_wait_alu 0xfffd
	v_cndmask_b32_e32 v12, v16, v15, vcc_lo
	v_add_co_u32 v15, vcc_lo, v11, 1
	s_wait_alu 0xfffd
	v_add_co_ci_u32_e32 v16, vcc_lo, 0, v6, vcc_lo
	s_delay_alu instid0(VALU_DEP_3) | instskip(SKIP_1) | instid1(VALU_DEP_2)
	v_cmp_ne_u32_e32 vcc_lo, 0, v12
	s_wait_alu 0xfffd
	v_dual_cndmask_b32 v5, v16, v14 :: v_dual_cndmask_b32 v12, v15, v13
	v_cmp_ne_u32_e32 vcc_lo, 0, v4
	s_wait_alu 0xfffd
	s_delay_alu instid0(VALU_DEP_2)
	v_dual_cndmask_b32 v6, v6, v5 :: v_dual_cndmask_b32 v5, v11, v12
.LBB0_4:                                ;   in Loop: Header=BB0_2 Depth=1
	s_wait_alu 0xfffe
	s_and_not1_saveexec_b32 s2, s26
	s_cbranch_execz .LBB0_6
; %bb.5:                                ;   in Loop: Header=BB0_2 Depth=1
	v_cvt_f32_u32_e32 v4, s24
	s_sub_co_i32 s26, 0, s24
	s_delay_alu instid0(VALU_DEP_1) | instskip(NEXT) | instid1(TRANS32_DEP_1)
	v_rcp_iflag_f32_e32 v4, v4
	v_mul_f32_e32 v4, 0x4f7ffffe, v4
	s_delay_alu instid0(VALU_DEP_1) | instskip(SKIP_1) | instid1(VALU_DEP_1)
	v_cvt_u32_f32_e32 v4, v4
	s_wait_alu 0xfffe
	v_mul_lo_u32 v5, s26, v4
	s_delay_alu instid0(VALU_DEP_1) | instskip(NEXT) | instid1(VALU_DEP_1)
	v_mul_hi_u32 v5, v4, v5
	v_add_nc_u32_e32 v4, v4, v5
	s_delay_alu instid0(VALU_DEP_1) | instskip(NEXT) | instid1(VALU_DEP_1)
	v_mul_hi_u32 v4, v9, v4
	v_mul_lo_u32 v5, v4, s24
	v_add_nc_u32_e32 v6, 1, v4
	s_delay_alu instid0(VALU_DEP_2) | instskip(NEXT) | instid1(VALU_DEP_1)
	v_sub_nc_u32_e32 v5, v9, v5
	v_subrev_nc_u32_e32 v11, s24, v5
	v_cmp_le_u32_e32 vcc_lo, s24, v5
	s_wait_alu 0xfffd
	s_delay_alu instid0(VALU_DEP_2) | instskip(NEXT) | instid1(VALU_DEP_1)
	v_dual_cndmask_b32 v5, v5, v11 :: v_dual_cndmask_b32 v4, v4, v6
	v_cmp_le_u32_e32 vcc_lo, s24, v5
	s_delay_alu instid0(VALU_DEP_2) | instskip(SKIP_1) | instid1(VALU_DEP_1)
	v_add_nc_u32_e32 v6, 1, v4
	s_wait_alu 0xfffd
	v_dual_cndmask_b32 v5, v4, v6 :: v_dual_mov_b32 v6, v3
.LBB0_6:                                ;   in Loop: Header=BB0_2 Depth=1
	s_wait_alu 0xfffe
	s_or_b32 exec_lo, exec_lo, s2
	s_delay_alu instid0(VALU_DEP_1) | instskip(NEXT) | instid1(VALU_DEP_2)
	v_mul_lo_u32 v4, v6, s24
	v_mul_lo_u32 v13, v5, s25
	s_load_b64 s[26:27], s[18:19], 0x0
	v_mad_co_u64_u32 v[11:12], null, v5, s24, 0
	s_load_b64 s[24:25], s[16:17], 0x0
	s_add_nc_u64 s[20:21], s[20:21], 1
	s_add_nc_u64 s[16:17], s[16:17], 8
	s_wait_alu 0xfffe
	v_cmp_ge_u64_e64 s2, s[20:21], s[10:11]
	s_add_nc_u64 s[18:19], s[18:19], 8
	s_add_nc_u64 s[22:23], s[22:23], 8
	v_add3_u32 v4, v12, v13, v4
	v_sub_co_u32 v9, vcc_lo, v9, v11
	s_wait_alu 0xfffd
	s_delay_alu instid0(VALU_DEP_2) | instskip(SKIP_2) | instid1(VALU_DEP_1)
	v_sub_co_ci_u32_e32 v4, vcc_lo, v10, v4, vcc_lo
	s_and_b32 vcc_lo, exec_lo, s2
	s_wait_kmcnt 0x0
	v_mul_lo_u32 v10, s26, v4
	v_mul_lo_u32 v11, s27, v9
	v_mad_co_u64_u32 v[7:8], null, s26, v9, v[7:8]
	v_mul_lo_u32 v4, s24, v4
	v_mul_lo_u32 v12, s25, v9
	v_mad_co_u64_u32 v[1:2], null, s24, v9, v[1:2]
	s_delay_alu instid0(VALU_DEP_4) | instskip(NEXT) | instid1(VALU_DEP_2)
	v_add3_u32 v8, v11, v8, v10
	v_add3_u32 v2, v12, v2, v4
	s_wait_alu 0xfffe
	s_cbranch_vccnz .LBB0_9
; %bb.7:                                ;   in Loop: Header=BB0_2 Depth=1
	v_dual_mov_b32 v10, v6 :: v_dual_mov_b32 v9, v5
	s_branch .LBB0_2
.LBB0_8:
	v_dual_mov_b32 v1, v7 :: v_dual_mov_b32 v2, v8
	v_dual_mov_b32 v5, v9 :: v_dual_mov_b32 v6, v10
.LBB0_9:
	s_load_b64 s[0:1], s[0:1], 0x28
	v_mul_hi_u32 v4, 0x1555556, v0
	s_lshl_b64 s[10:11], s[10:11], 3
                                        ; implicit-def: $vgpr3
	s_wait_alu 0xfffe
	s_add_nc_u64 s[2:3], s[14:15], s[10:11]
	s_wait_kmcnt 0x0
	v_cmp_gt_u64_e32 vcc_lo, s[0:1], v[5:6]
	v_cmp_le_u64_e64 s0, s[0:1], v[5:6]
	s_delay_alu instid0(VALU_DEP_1)
	s_and_saveexec_b32 s1, s0
	s_wait_alu 0xfffe
	s_xor_b32 s0, exec_lo, s1
; %bb.10:
	v_mul_u32_u24_e32 v3, 0xc0, v4
                                        ; implicit-def: $vgpr4
                                        ; implicit-def: $vgpr7_vgpr8
	s_delay_alu instid0(VALU_DEP_1)
	v_sub_nc_u32_e32 v3, v0, v3
                                        ; implicit-def: $vgpr0
; %bb.11:
	s_wait_alu 0xfffe
	s_or_saveexec_b32 s1, s0
	s_load_b64 s[2:3], s[2:3], 0x0
	s_xor_b32 exec_lo, exec_lo, s1
	s_cbranch_execz .LBB0_15
; %bb.12:
	s_add_nc_u64 s[10:11], s[12:13], s[10:11]
	v_lshlrev_b64_e32 v[7:8], 3, v[7:8]
	s_load_b64 s[10:11], s[10:11], 0x0
	s_wait_kmcnt 0x0
	v_mul_lo_u32 v3, s11, v5
	v_mul_lo_u32 v11, s10, v6
	v_mad_co_u64_u32 v[9:10], null, s10, v5, 0
	s_delay_alu instid0(VALU_DEP_1) | instskip(SKIP_1) | instid1(VALU_DEP_2)
	v_add3_u32 v10, v10, v11, v3
	v_mul_u32_u24_e32 v3, 0xc0, v4
	v_lshlrev_b64_e32 v[9:10], 3, v[9:10]
	s_delay_alu instid0(VALU_DEP_2) | instskip(NEXT) | instid1(VALU_DEP_1)
	v_sub_nc_u32_e32 v3, v0, v3
	v_lshlrev_b32_e32 v33, 3, v3
	s_delay_alu instid0(VALU_DEP_3) | instskip(SKIP_1) | instid1(VALU_DEP_4)
	v_add_co_u32 v0, s0, s4, v9
	s_wait_alu 0xf1ff
	v_add_co_ci_u32_e64 v4, s0, s5, v10, s0
	s_mov_b32 s4, exec_lo
	s_delay_alu instid0(VALU_DEP_2) | instskip(SKIP_1) | instid1(VALU_DEP_2)
	v_add_co_u32 v7, s0, v0, v7
	s_wait_alu 0xf1ff
	v_add_co_ci_u32_e64 v8, s0, v4, v8, s0
	v_add_nc_u32_e32 v0, 0, v33
	s_delay_alu instid0(VALU_DEP_3) | instskip(SKIP_1) | instid1(VALU_DEP_3)
	v_add_co_u32 v9, s0, v7, v33
	s_wait_alu 0xf1ff
	v_add_co_ci_u32_e64 v10, s0, 0, v8, s0
	s_clause 0xb
	global_load_b64 v[11:12], v[9:10], off
	global_load_b64 v[13:14], v[9:10], off offset:1536
	global_load_b64 v[15:16], v[9:10], off offset:3072
	global_load_b64 v[17:18], v[9:10], off offset:4608
	global_load_b64 v[19:20], v[9:10], off offset:6144
	global_load_b64 v[21:22], v[9:10], off offset:7680
	global_load_b64 v[23:24], v[9:10], off offset:9216
	global_load_b64 v[25:26], v[9:10], off offset:10752
	global_load_b64 v[27:28], v[9:10], off offset:12288
	global_load_b64 v[29:30], v[9:10], off offset:13824
	global_load_b64 v[31:32], v[9:10], off offset:15360
	global_load_b64 v[9:10], v[9:10], off offset:16896
	s_wait_loadcnt 0xa
	ds_store_2addr_stride64_b64 v0, v[11:12], v[13:14] offset1:3
	s_wait_loadcnt 0x8
	ds_store_2addr_stride64_b64 v0, v[15:16], v[17:18] offset0:6 offset1:9
	s_wait_loadcnt 0x6
	ds_store_2addr_stride64_b64 v0, v[19:20], v[21:22] offset0:12 offset1:15
	;; [unrolled: 2-line block ×5, first 2 shown]
	v_cmpx_eq_u32_e32 0xbf, v3
	s_cbranch_execz .LBB0_14
; %bb.13:
	global_load_b64 v[7:8], v[7:8], off offset:18432
	v_dual_mov_b32 v0, 0 :: v_dual_mov_b32 v3, 0xbf
	s_wait_loadcnt 0x0
	ds_store_b64 v0, v[7:8] offset:18432
.LBB0_14:
	s_wait_alu 0xfffe
	s_or_b32 exec_lo, exec_lo, s4
.LBB0_15:
	s_delay_alu instid0(SALU_CYCLE_1)
	s_or_b32 exec_lo, exec_lo, s1
	v_lshlrev_b32_e32 v4, 3, v3
	global_wb scope:SCOPE_SE
	s_wait_dscnt 0x0
	s_wait_kmcnt 0x0
	s_barrier_signal -1
	s_barrier_wait -1
	global_inv scope:SCOPE_SE
	v_add_nc_u32_e32 v0, 0, v4
	v_sub_nc_u32_e32 v11, 0, v4
	s_mov_b32 s1, exec_lo
                                        ; implicit-def: $vgpr9_vgpr10
	ds_load_b32 v12, v0
	ds_load_b32 v13, v11 offset:18432
	s_wait_dscnt 0x0
	v_dual_add_f32 v7, v13, v12 :: v_dual_sub_f32 v8, v12, v13
	v_cmpx_ne_u32_e32 0, v3
	s_wait_alu 0xfffe
	s_xor_b32 s1, exec_lo, s1
	s_cbranch_execz .LBB0_17
; %bb.16:
	v_dual_mov_b32 v4, 0 :: v_dual_sub_f32 v15, v12, v13
	s_delay_alu instid0(VALU_DEP_1) | instskip(NEXT) | instid1(VALU_DEP_1)
	v_lshlrev_b64_e32 v[7:8], 3, v[3:4]
	v_add_co_u32 v7, s0, s8, v7
	s_wait_alu 0xf1ff
	s_delay_alu instid0(VALU_DEP_2)
	v_add_co_ci_u32_e64 v8, s0, s9, v8, s0
	global_load_b64 v[9:10], v[7:8], off offset:18384
	ds_load_b32 v7, v11 offset:18436
	ds_load_b32 v8, v0 offset:4
	v_add_f32_e32 v14, v13, v12
	s_wait_dscnt 0x0
	v_dual_add_f32 v16, v7, v8 :: v_dual_sub_f32 v7, v8, v7
	s_wait_loadcnt 0x0
	s_delay_alu instid0(VALU_DEP_2) | instskip(NEXT) | instid1(VALU_DEP_2)
	v_fma_f32 v12, -v15, v10, v14
	v_fma_f32 v13, v16, v10, -v7
	v_fma_f32 v17, v15, v10, v14
	v_fma_f32 v8, v16, v10, v7
	s_delay_alu instid0(VALU_DEP_3) | instskip(NEXT) | instid1(VALU_DEP_3)
	v_dual_fmac_f32 v12, v9, v16 :: v_dual_fmac_f32 v13, v15, v9
	v_fma_f32 v7, -v9, v16, v17
	s_delay_alu instid0(VALU_DEP_3)
	v_fmac_f32_e32 v8, v15, v9
	v_dual_mov_b32 v10, v4 :: v_dual_mov_b32 v9, v3
	ds_store_b64 v11, v[12:13] offset:18432
.LBB0_17:
	s_wait_alu 0xfffe
	s_and_not1_saveexec_b32 s0, s1
	s_cbranch_execz .LBB0_19
; %bb.18:
	v_mov_b32_e32 v4, 0
	ds_load_b64 v[9:10], v4 offset:9216
	s_wait_dscnt 0x0
	v_dual_mul_f32 v13, -2.0, v10 :: v_dual_add_f32 v12, v9, v9
	v_mov_b32_e32 v9, 0
	v_mov_b32_e32 v10, 0
	ds_store_b64 v4, v[12:13] offset:9216
.LBB0_19:
	s_wait_alu 0xfffe
	s_or_b32 exec_lo, exec_lo, s0
	v_lshlrev_b64_e32 v[9:10], 3, v[9:10]
	s_add_nc_u64 s[0:1], s[8:9], 0x47d0
	v_mad_u32_u24 v35, v3, 40, v0
	v_and_b32_e32 v31, 0xff, v3
	s_wait_alu 0xfffe
	s_delay_alu instid0(VALU_DEP_3)
	v_add_co_u32 v9, s0, s0, v9
	s_wait_alu 0xf1ff
	v_add_co_ci_u32_e64 v10, s0, s1, v10, s0
	s_clause 0x4
	global_load_b64 v[12:13], v[9:10], off offset:1536
	global_load_b64 v[14:15], v[9:10], off offset:3072
	;; [unrolled: 1-line block ×5, first 2 shown]
	ds_store_b64 v0, v[7:8]
	ds_load_b64 v[7:8], v0 offset:1536
	ds_load_b64 v[20:21], v11 offset:16896
	v_cmp_gt_u32_e64 s0, 0x90, v3
	s_wait_dscnt 0x0
	v_dual_add_f32 v4, v7, v20 :: v_dual_add_nc_u32 v39, 0x2410, v35
	v_add_f32_e32 v22, v21, v8
	v_sub_f32_e32 v23, v7, v20
	v_sub_f32_e32 v7, v8, v21
	s_wait_loadcnt 0x4
	s_delay_alu instid0(VALU_DEP_2) | instskip(NEXT) | instid1(VALU_DEP_2)
	v_fma_f32 v20, -v23, v13, v4
	v_fma_f32 v8, v22, v13, v7
	v_fma_f32 v21, v22, v13, -v7
	s_delay_alu instid0(VALU_DEP_3) | instskip(SKIP_1) | instid1(VALU_DEP_4)
	v_fmac_f32_e32 v20, v12, v22
	v_fma_f32 v24, v23, v13, v4
	v_fmac_f32_e32 v8, v23, v12
	s_delay_alu instid0(VALU_DEP_4) | instskip(NEXT) | instid1(VALU_DEP_3)
	v_fmac_f32_e32 v21, v23, v12
	v_fma_f32 v7, -v12, v22, v24
	ds_store_b64 v0, v[7:8] offset:1536
	ds_store_b64 v11, v[20:21] offset:16896
	ds_load_b64 v[7:8], v0 offset:3072
	ds_load_b64 v[12:13], v11 offset:15360
	s_wait_dscnt 0x0
	v_add_f32_e32 v4, v7, v12
	v_add_f32_e32 v20, v13, v8
	v_sub_f32_e32 v21, v7, v12
	v_sub_f32_e32 v7, v8, v13
	s_wait_loadcnt 0x3
	s_delay_alu instid0(VALU_DEP_2) | instskip(NEXT) | instid1(VALU_DEP_2)
	v_fma_f32 v22, v21, v15, v4
	v_fma_f32 v8, v20, v15, v7
	v_fma_f32 v12, -v21, v15, v4
	v_fma_f32 v13, v20, v15, -v7
	s_delay_alu instid0(VALU_DEP_4) | instskip(NEXT) | instid1(VALU_DEP_4)
	v_fma_f32 v7, -v14, v20, v22
	v_fmac_f32_e32 v8, v21, v14
	s_delay_alu instid0(VALU_DEP_3)
	v_dual_fmac_f32 v12, v14, v20 :: v_dual_fmac_f32 v13, v21, v14
	ds_store_b64 v0, v[7:8] offset:3072
	ds_store_b64 v11, v[12:13] offset:15360
	ds_load_b64 v[7:8], v0 offset:4608
	ds_load_b64 v[12:13], v11 offset:13824
	s_wait_dscnt 0x0
	v_add_f32_e32 v4, v7, v12
	v_add_f32_e32 v14, v13, v8
	v_sub_f32_e32 v15, v7, v12
	v_sub_f32_e32 v7, v8, v13
	s_wait_loadcnt 0x2
	s_delay_alu instid0(VALU_DEP_2) | instskip(NEXT) | instid1(VALU_DEP_2)
	v_fma_f32 v20, v15, v17, v4
	v_fma_f32 v8, v14, v17, v7
	v_fma_f32 v12, -v15, v17, v4
	v_fma_f32 v13, v14, v17, -v7
	s_delay_alu instid0(VALU_DEP_4) | instskip(NEXT) | instid1(VALU_DEP_4)
	v_fma_f32 v7, -v16, v14, v20
	v_fmac_f32_e32 v8, v15, v16
	s_delay_alu instid0(VALU_DEP_3)
	v_dual_fmac_f32 v12, v16, v14 :: v_dual_fmac_f32 v13, v15, v16
	ds_store_b64 v0, v[7:8] offset:4608
	ds_store_b64 v11, v[12:13] offset:13824
	ds_load_b64 v[7:8], v0 offset:6144
	ds_load_b64 v[12:13], v11 offset:12288
	s_wait_dscnt 0x0
	v_add_f32_e32 v4, v7, v12
	v_add_f32_e32 v14, v13, v8
	v_sub_f32_e32 v15, v7, v12
	v_sub_f32_e32 v7, v8, v13
	s_wait_loadcnt 0x1
	s_delay_alu instid0(VALU_DEP_2) | instskip(NEXT) | instid1(VALU_DEP_2)
	v_fma_f32 v16, v15, v19, v4
	v_fma_f32 v8, v14, v19, v7
	v_fma_f32 v12, -v15, v19, v4
	v_fma_f32 v13, v14, v19, -v7
	v_add_nc_u32_e32 v4, 0xc0, v3
	v_fma_f32 v7, -v18, v14, v16
	v_fmac_f32_e32 v8, v15, v18
	v_fmac_f32_e32 v12, v18, v14
	;; [unrolled: 1-line block ×3, first 2 shown]
	ds_store_b64 v0, v[7:8] offset:6144
	ds_store_b64 v11, v[12:13] offset:12288
	ds_load_b64 v[7:8], v0 offset:7680
	ds_load_b64 v[12:13], v11 offset:10752
	v_mul_lo_u16 v14, 0xab, v31
	v_and_b32_e32 v32, 0xffff, v4
	s_delay_alu instid0(VALU_DEP_2) | instskip(NEXT) | instid1(VALU_DEP_2)
	v_lshrrev_b16 v33, 10, v14
	v_mul_u32_u24_e32 v17, 0xaaab, v32
	s_delay_alu instid0(VALU_DEP_2) | instskip(NEXT) | instid1(VALU_DEP_2)
	v_mul_lo_u16 v18, v33, 6
	v_lshrrev_b32_e32 v34, 18, v17
	s_delay_alu instid0(VALU_DEP_1)
	v_mul_lo_u16 v20, v34, 6
	s_wait_dscnt 0x0
	v_add_f32_e32 v14, v7, v12
	v_sub_f32_e32 v16, v7, v12
	v_add_f32_e32 v15, v13, v8
	v_sub_f32_e32 v7, v8, v13
	v_sub_nc_u16 v37, v4, v20
	s_wait_loadcnt 0x0
	v_fma_f32 v19, v16, v10, v14
	v_fma_f32 v12, -v16, v10, v14
	v_fma_f32 v8, v15, v10, v7
	v_fma_f32 v13, v15, v10, -v7
	s_delay_alu instid0(VALU_DEP_4) | instskip(SKIP_1) | instid1(VALU_DEP_4)
	v_fma_f32 v7, -v9, v15, v19
	v_sub_nc_u16 v19, v3, v18
	v_fmac_f32_e32 v8, v16, v9
	s_delay_alu instid0(VALU_DEP_2)
	v_dual_fmac_f32 v13, v16, v9 :: v_dual_and_b32 v36, 0xff, v19
	v_fmac_f32_e32 v12, v9, v15
	ds_store_b64 v0, v[7:8] offset:7680
	ds_store_b64 v11, v[12:13] offset:10752
	global_wb scope:SCOPE_SE
	s_wait_dscnt 0x0
	s_barrier_signal -1
	s_barrier_wait -1
	global_inv scope:SCOPE_SE
	global_wb scope:SCOPE_SE
	s_barrier_signal -1
	s_barrier_wait -1
	global_inv scope:SCOPE_SE
	ds_load_2addr_stride64_b64 v[7:10], v0 offset1:3
	ds_load_2addr_stride64_b64 v[11:14], v0 offset0:12 offset1:15
	ds_load_2addr_stride64_b64 v[15:18], v0 offset0:24 offset1:27
	;; [unrolled: 1-line block ×5, first 2 shown]
	v_mul_u32_u24_e32 v38, 5, v36
	v_and_b32_e32 v46, 0xffff, v37
	v_add_nc_u32_e32 v40, 0x2420, v35
	v_add_nc_u32_e32 v37, 0x2400, v35
	global_wb scope:SCOPE_SE
	s_wait_dscnt 0x0
	v_lshlrev_b32_e32 v38, 3, v38
	s_barrier_signal -1
	s_barrier_wait -1
	global_inv scope:SCOPE_SE
	v_dual_add_f32 v42, v7, v11 :: v_dual_add_f32 v55, v21, v25
	v_dual_add_f32 v43, v11, v15 :: v_dual_sub_f32 v44, v12, v16
	v_add_f32_e32 v47, v19, v23
	v_add_f32_e32 v45, v8, v12
	v_dual_add_f32 v12, v12, v16 :: v_dual_sub_f32 v11, v11, v15
	v_dual_add_f32 v50, v20, v24 :: v_dual_add_f32 v15, v42, v15
	v_add_f32_e32 v52, v13, v17
	v_add_f32_e32 v48, v23, v27
	v_sub_f32_e32 v23, v23, v27
	v_add_f32_e32 v51, v9, v13
	v_sub_f32_e32 v53, v14, v18
	v_fma_f32 v42, -0.5, v43, v7
	v_fma_f32 v43, -0.5, v12, v8
	v_dual_add_f32 v12, v47, v27 :: v_dual_add_f32 v27, v50, v28
	v_fma_f32 v9, -0.5, v52, v9
	v_sub_f32_e32 v49, v24, v28
	v_add_f32_e32 v24, v24, v28
	v_add_f32_e32 v54, v10, v14
	;; [unrolled: 1-line block ×3, first 2 shown]
	v_dual_sub_f32 v57, v26, v30 :: v_dual_add_f32 v16, v45, v16
	v_fmamk_f32 v45, v53, 0xbf5db3d7, v9
	v_fmac_f32_e32 v9, 0x3f5db3d7, v53
	v_dual_add_f32 v56, v25, v29 :: v_dual_add_f32 v7, v15, v12
	v_sub_f32_e32 v25, v25, v29
	v_fma_f32 v19, -0.5, v48, v19
	v_add_f32_e32 v58, v22, v26
	v_dual_add_f32 v26, v26, v30 :: v_dual_sub_f32 v13, v13, v17
	v_add_f32_e32 v17, v51, v17
	v_fma_f32 v20, -0.5, v24, v20
	v_add_f32_e32 v24, v55, v29
	v_fma_f32 v21, -0.5, v56, v21
	v_fmamk_f32 v29, v11, 0x3f5db3d7, v43
	v_dual_fmac_f32 v43, 0xbf5db3d7, v11 :: v_dual_fmac_f32 v10, -0.5, v14
	v_dual_sub_f32 v11, v15, v12 :: v_dual_fmac_f32 v22, -0.5, v26
	v_add_f32_e32 v8, v16, v27
	v_sub_f32_e32 v12, v16, v27
	v_add_f32_e32 v28, v58, v30
	v_mul_u32_u24_e32 v41, 5, v46
	v_fmamk_f32 v27, v25, 0x3f5db3d7, v22
	v_dual_fmamk_f32 v26, v44, 0xbf5db3d7, v42 :: v_dual_sub_f32 v15, v17, v24
	v_fmac_f32_e32 v42, 0x3f5db3d7, v44
	v_fmamk_f32 v44, v23, 0x3f5db3d7, v20
	v_dual_fmac_f32 v20, 0xbf5db3d7, v23 :: v_dual_fmamk_f32 v23, v57, 0xbf5db3d7, v21
	v_dual_add_f32 v18, v54, v18 :: v_dual_fmamk_f32 v47, v13, 0x3f5db3d7, v10
	v_dual_fmac_f32 v10, 0xbf5db3d7, v13 :: v_dual_add_f32 v13, v17, v24
	v_fmac_f32_e32 v22, 0xbf5db3d7, v25
	v_fmamk_f32 v30, v49, 0xbf5db3d7, v19
	v_fmac_f32_e32 v19, 0x3f5db3d7, v49
	v_fmac_f32_e32 v21, 0x3f5db3d7, v57
	s_delay_alu instid0(VALU_DEP_4) | instskip(SKIP_3) | instid1(VALU_DEP_4)
	v_dual_mul_f32 v48, 0xbf5db3d7, v27 :: v_dual_mul_f32 v49, 0xbf5db3d7, v22
	v_mul_f32_e32 v25, 0xbf5db3d7, v20
	v_mul_f32_e32 v51, -0.5, v22
	v_mul_u32_u24_e32 v53, 0xe38f, v32
	v_fmac_f32_e32 v48, 0.5, v23
	v_mul_f32_e32 v50, 0.5, v27
	v_dual_fmac_f32 v25, -0.5, v19 :: v_dual_mul_f32 v24, 0xbf5db3d7, v44
	v_dual_fmac_f32 v49, -0.5, v21 :: v_dual_add_f32 v14, v18, v28
	v_sub_f32_e32 v16, v18, v28
	v_mul_f32_e32 v28, 0.5, v44
	v_mul_f32_e32 v44, -0.5, v20
	v_dual_fmac_f32 v50, 0x3f5db3d7, v23 :: v_dual_sub_f32 v23, v42, v25
	s_delay_alu instid0(VALU_DEP_3) | instskip(NEXT) | instid1(VALU_DEP_3)
	v_dual_fmac_f32 v51, 0x3f5db3d7, v21 :: v_dual_fmac_f32 v28, 0x3f5db3d7, v30
	v_dual_fmac_f32 v44, 0x3f5db3d7, v19 :: v_dual_add_f32 v19, v42, v25
	v_dual_fmac_f32 v24, 0.5, v30 :: v_dual_add_f32 v25, v45, v48
	s_delay_alu instid0(VALU_DEP_3) | instskip(SKIP_2) | instid1(VALU_DEP_4)
	v_add_f32_e32 v18, v29, v28
	v_sub_f32_e32 v22, v29, v28
	v_sub_f32_e32 v29, v45, v48
	v_add_f32_e32 v17, v26, v24
	v_add_f32_e32 v20, v43, v44
	v_sub_f32_e32 v21, v26, v24
	v_sub_f32_e32 v24, v43, v44
	v_dual_add_f32 v26, v47, v50 :: v_dual_add_f32 v27, v9, v49
	v_dual_add_f32 v28, v10, v51 :: v_dual_sub_f32 v9, v9, v49
	v_sub_f32_e32 v30, v47, v50
	v_sub_f32_e32 v10, v10, v51
	ds_store_2addr_b64 v35, v[7:8], v[17:18] offset1:1
	ds_store_2addr_b64 v35, v[19:20], v[11:12] offset0:2 offset1:3
	ds_store_2addr_b64 v35, v[21:22], v[23:24] offset0:4 offset1:5
	ds_store_2addr_b64 v37, v[13:14], v[25:26] offset1:1
	ds_store_2addr_b64 v39, v[27:28], v[15:16] offset1:1
	;; [unrolled: 1-line block ×3, first 2 shown]
	v_lshlrev_b32_e32 v9, 3, v41
	global_wb scope:SCOPE_SE
	s_wait_dscnt 0x0
	s_barrier_signal -1
	s_barrier_wait -1
	global_inv scope:SCOPE_SE
	s_clause 0x5
	global_load_b128 v[10:13], v38, s[8:9]
	global_load_b128 v[14:17], v38, s[8:9] offset:16
	global_load_b64 v[7:8], v38, s[8:9] offset:32
	global_load_b128 v[18:21], v9, s[8:9]
	global_load_b128 v[22:25], v9, s[8:9] offset:16
	global_load_b64 v[50:51], v9, s[8:9] offset:32
	v_mul_lo_u16 v26, v31, 57
	v_add_nc_u32_e32 v9, 0x180, v3
	v_lshrrev_b32_e32 v55, 21, v53
	v_mul_u32_u24_e32 v48, 0x120, v34
	ds_load_2addr_stride64_b64 v[38:41], v0 offset0:24 offset1:27
	v_lshrrev_b16 v52, 11, v26
	v_and_b32_e32 v27, 0xffff, v9
	v_mul_lo_u16 v28, v55, 36
	s_delay_alu instid0(VALU_DEP_3) | instskip(NEXT) | instid1(VALU_DEP_3)
	v_mul_lo_u16 v26, v52, 36
	v_mul_u32_u24_e32 v54, 0xe38f, v27
	v_and_b32_e32 v27, 0xffff, v33
	s_delay_alu instid0(VALU_DEP_4) | instskip(NEXT) | instid1(VALU_DEP_4)
	v_sub_nc_u16 v42, v4, v28
	v_sub_nc_u16 v26, v3, v26
	s_delay_alu instid0(VALU_DEP_4) | instskip(NEXT) | instid1(VALU_DEP_4)
	v_lshrrev_b32_e32 v56, 21, v54
	v_mul_u32_u24_e32 v47, 0x120, v27
	v_lshrrev_b32_e32 v54, 23, v54
	s_delay_alu instid0(VALU_DEP_4)
	v_and_b32_e32 v57, 0xff, v26
	ds_load_2addr_stride64_b64 v[26:29], v0 offset0:6 offset1:9
	v_lshlrev_b32_e32 v58, 3, v36
	ds_load_2addr_stride64_b64 v[34:37], v0 offset0:18 offset1:21
	v_mul_lo_u16 v30, v56, 36
	v_and_b32_e32 v60, 0xffff, v42
	ds_load_2addr_stride64_b64 v[42:45], v0 offset0:30 offset1:33
	v_lshlrev_b32_e32 v46, 3, v46
	v_mul_u32_u24_e32 v59, 3, v57
	v_sub_nc_u16 v49, v9, v30
	ds_load_2addr_stride64_b64 v[30:33], v0 offset0:12 offset1:15
	v_lshlrev_b32_e32 v59, 3, v59
	s_wait_loadcnt_dscnt 0x503
	v_dual_mul_f32 v64, v11, v27 :: v_dual_and_b32 v61, 0xffff, v49
	s_wait_loadcnt 0x2
	v_mul_f32_e32 v69, v29, v19
	v_add3_u32 v58, 0, v47, v58
	s_wait_loadcnt_dscnt 0x102
	v_mul_f32_e32 v71, v37, v23
	v_add3_u32 v63, 0, v48, v46
	ds_load_2addr_stride64_b64 v[46:49], v0 offset1:3
	v_mul_f32_e32 v11, v11, v26
	s_wait_dscnt 0x1
	v_mul_f32_e32 v65, v13, v31
	v_mul_f32_e32 v13, v13, v30
	;; [unrolled: 1-line block ×3, first 2 shown]
	v_dual_mul_f32 v17, v17, v38 :: v_dual_mul_f32 v66, v15, v35
	s_delay_alu instid0(VALU_DEP_4)
	v_fmac_f32_e32 v65, v12, v30
	v_dual_mul_f32 v15, v15, v34 :: v_dual_mul_f32 v68, v8, v43
	s_wait_loadcnt 0x0
	v_dual_mul_f32 v8, v8, v42 :: v_dual_mul_f32 v73, v45, v51
	v_dual_mul_f32 v19, v28, v19 :: v_dual_mul_f32 v70, v33, v21
	v_mul_f32_e32 v23, v36, v23
	v_mul_f32_e32 v21, v32, v21
	v_dual_mul_f32 v72, v41, v25 :: v_dual_mul_f32 v51, v44, v51
	v_mul_f32_e32 v25, v40, v25
	v_fmac_f32_e32 v67, v16, v38
	v_fmac_f32_e32 v64, v10, v26
	v_fma_f32 v26, v10, v27, -v11
	v_fma_f32 v10, v12, v31, -v13
	;; [unrolled: 1-line block ×5, first 2 shown]
	s_wait_dscnt 0x0
	v_dual_fmac_f32 v70, v32, v20 :: v_dual_add_f32 v17, v46, v65
	v_dual_fmac_f32 v68, v7, v42 :: v_dual_sub_f32 v19, v10, v12
	v_fma_f32 v7, v7, v43, -v8
	v_fmac_f32_e32 v66, v14, v34
	v_fma_f32 v8, v33, v20, -v21
	v_fmac_f32_e32 v71, v36, v22
	v_add_f32_e32 v20, v47, v10
	v_dual_add_f32 v10, v10, v12 :: v_dual_fmac_f32 v69, v28, v18
	v_add_f32_e32 v18, v65, v67
	v_fma_f32 v13, v37, v22, -v23
	v_fmac_f32_e32 v72, v40, v24
	v_fma_f32 v14, v41, v24, -v25
	v_fma_f32 v15, v45, v50, -v51
	v_sub_f32_e32 v24, v11, v7
	v_add_f32_e32 v33, v69, v71
	v_add_f32_e32 v25, v26, v11
	v_dual_fmac_f32 v73, v44, v50 :: v_dual_sub_f32 v32, v70, v72
	v_sub_f32_e32 v21, v65, v67
	v_dual_add_f32 v11, v11, v7 :: v_dual_add_f32 v22, v64, v66
	v_dual_sub_f32 v27, v66, v68 :: v_dual_sub_f32 v30, v8, v14
	v_dual_add_f32 v31, v49, v8 :: v_dual_add_f32 v8, v8, v14
	v_dual_sub_f32 v35, v13, v15 :: v_dual_add_f32 v34, v71, v73
	v_dual_add_f32 v36, v16, v13 :: v_dual_add_f32 v17, v17, v67
	v_add_f32_e32 v13, v13, v15
	v_dual_add_f32 v23, v66, v68 :: v_dual_add_f32 v28, v48, v70
	v_add_f32_e32 v29, v70, v72
	v_dual_sub_f32 v37, v71, v73 :: v_dual_add_f32 v12, v20, v12
	v_fma_f32 v38, -0.5, v18, v46
	v_fma_f32 v39, -0.5, v10, v47
	v_dual_add_f32 v10, v22, v68 :: v_dual_fmac_f32 v69, -0.5, v34
	v_add_f32_e32 v18, v25, v7
	s_delay_alu instid0(VALU_DEP_3) | instskip(NEXT) | instid1(VALU_DEP_3)
	v_dual_fmac_f32 v26, -0.5, v11 :: v_dual_fmamk_f32 v25, v21, 0x3f5db3d7, v39
	v_dual_fmac_f32 v16, -0.5, v13 :: v_dual_add_f32 v7, v17, v10
	v_dual_fmac_f32 v64, -0.5, v23 :: v_dual_fmac_f32 v49, -0.5, v8
	v_dual_add_f32 v20, v28, v72 :: v_dual_fmac_f32 v39, 0xbf5db3d7, v21
	v_dual_add_f32 v22, v31, v14 :: v_dual_add_f32 v15, v36, v15
	v_dual_add_f32 v14, v33, v73 :: v_dual_fmamk_f32 v23, v19, 0xbf5db3d7, v38
	v_dual_fmac_f32 v38, 0x3f5db3d7, v19 :: v_dual_sub_f32 v11, v12, v18
	v_dual_fmamk_f32 v21, v27, 0x3f5db3d7, v26 :: v_dual_add_f32 v8, v12, v18
	v_dual_sub_f32 v10, v17, v10 :: v_dual_fmamk_f32 v31, v32, 0x3f5db3d7, v49
	v_fmamk_f32 v17, v35, 0xbf5db3d7, v69
	v_dual_fmac_f32 v69, 0x3f5db3d7, v35 :: v_dual_fmamk_f32 v18, v37, 0x3f5db3d7, v16
	v_fmac_f32_e32 v16, 0xbf5db3d7, v37
	v_fma_f32 v29, -0.5, v29, v48
	v_fmamk_f32 v19, v24, 0xbf5db3d7, v64
	v_dual_fmac_f32 v26, 0xbf5db3d7, v27 :: v_dual_fmac_f32 v49, 0xbf5db3d7, v32
	v_dual_add_f32 v12, v20, v14 :: v_dual_add_f32 v13, v22, v15
	v_dual_sub_f32 v14, v20, v14 :: v_dual_sub_f32 v15, v22, v15
	v_dual_mul_f32 v20, 0xbf5db3d7, v21 :: v_dual_mul_f32 v33, 0.5, v18
	v_mul_f32_e32 v34, -0.5, v16
	v_fmac_f32_e32 v64, 0x3f5db3d7, v24
	v_dual_fmamk_f32 v28, v30, 0xbf5db3d7, v29 :: v_dual_mul_f32 v21, 0.5, v21
	s_delay_alu instid0(VALU_DEP_4) | instskip(NEXT) | instid1(VALU_DEP_4)
	v_dual_mul_f32 v24, -0.5, v26 :: v_dual_fmac_f32 v33, 0x3f5db3d7, v17
	v_dual_fmac_f32 v34, 0x3f5db3d7, v69 :: v_dual_fmac_f32 v29, 0x3f5db3d7, v30
	s_delay_alu instid0(VALU_DEP_3) | instskip(SKIP_1) | instid1(VALU_DEP_3)
	v_fmac_f32_e32 v21, 0x3f5db3d7, v19
	v_mul_f32_e32 v22, 0xbf5db3d7, v26
	v_dual_fmac_f32 v24, 0x3f5db3d7, v64 :: v_dual_add_f32 v27, v49, v34
	v_mul_f32_e32 v30, 0xbf5db3d7, v18
	v_mul_f32_e32 v32, 0xbf5db3d7, v16
	s_delay_alu instid0(VALU_DEP_3) | instskip(SKIP_1) | instid1(VALU_DEP_4)
	v_dual_fmac_f32 v20, 0.5, v19 :: v_dual_add_f32 v19, v39, v24
	v_mul_u32_u24_e32 v62, 3, v60
	v_fmac_f32_e32 v30, 0.5, v17
	v_dual_add_f32 v17, v25, v21 :: v_dual_fmac_f32 v22, -0.5, v64
	v_sub_f32_e32 v21, v25, v21
	v_add_f32_e32 v25, v31, v33
	v_fmac_f32_e32 v32, -0.5, v69
	v_add_f32_e32 v16, v23, v20
	v_add_f32_e32 v18, v38, v22
	v_dual_sub_f32 v20, v23, v20 :: v_dual_lshlrev_b32 v45, 3, v57
	v_dual_sub_f32 v22, v38, v22 :: v_dual_sub_f32 v23, v39, v24
	v_add_f32_e32 v24, v28, v30
	v_add_f32_e32 v26, v29, v32
	global_wb scope:SCOPE_SE
	s_barrier_signal -1
	s_barrier_wait -1
	global_inv scope:SCOPE_SE
	v_sub_f32_e32 v28, v28, v30
	v_dual_sub_f32 v30, v29, v32 :: v_dual_sub_f32 v29, v31, v33
	v_sub_f32_e32 v31, v49, v34
	ds_store_2addr_b64 v58, v[7:8], v[16:17] offset1:6
	ds_store_2addr_b64 v58, v[18:19], v[10:11] offset0:12 offset1:18
	ds_store_2addr_b64 v58, v[20:21], v[22:23] offset0:24 offset1:30
	ds_store_2addr_b64 v63, v[12:13], v[24:25] offset1:6
	ds_store_2addr_b64 v63, v[26:27], v[14:15] offset0:12 offset1:18
	ds_store_2addr_b64 v63, v[28:29], v[30:31] offset0:24 offset1:30
	v_mul_u32_u24_e32 v8, 3, v61
	global_wb scope:SCOPE_SE
	s_wait_dscnt 0x0
	s_barrier_signal -1
	s_barrier_wait -1
	global_inv scope:SCOPE_SE
	global_load_b128 v[10:13], v59, s[8:9] offset:240
	v_lshlrev_b32_e32 v7, 3, v62
	v_lshlrev_b32_e32 v8, 3, v8
	s_clause 0x4
	global_load_b64 v[46:47], v59, s[8:9] offset:256
	global_load_b128 v[14:17], v7, s[8:9] offset:240
	global_load_b64 v[48:49], v7, s[8:9] offset:256
	global_load_b128 v[18:21], v8, s[8:9] offset:240
	global_load_b64 v[50:51], v8, s[8:9] offset:256
	v_mul_lo_u16 v26, 0x90, v54
	v_add_nc_u32_e32 v7, 0xffffff70, v3
	ds_load_2addr_stride64_b64 v[38:41], v0 offset0:30 offset1:33
	v_and_b32_e32 v24, 0xffff, v52
	v_mul_u32_u24_e32 v44, 0x480, v56
	v_sub_nc_u16 v9, v9, v26
	ds_load_2addr_stride64_b64 v[26:29], v0 offset0:18 offset1:21
	s_wait_alu 0xf1ff
	v_cndmask_b32_e64 v58, v7, v3, s0
	v_mov_b32_e32 v8, 0
	ds_load_2addr_stride64_b64 v[30:33], v0 offset0:24 offset1:27
	v_lshlrev_b32_e32 v56, 3, v61
	ds_load_2addr_stride64_b64 v[34:37], v0 offset0:12 offset1:15
	v_mul_i32_i24_e32 v7, 3, v58
	v_mul_u32_u24_e32 v43, 0x480, v55
	v_and_b32_e32 v55, 0xffff, v9
	v_lshlrev_b32_e32 v9, 3, v60
	s_delay_alu instid0(VALU_DEP_1)
	v_add3_u32 v60, 0, v43, v9
	s_wait_loadcnt_dscnt 0x502
	v_mul_f32_e32 v61, v13, v27
	v_mul_f32_e32 v13, v13, v26
	v_lshlrev_b64_e32 v[22:23], 3, v[7:8]
	v_lshrrev_b32_e32 v7, 23, v53
	s_wait_loadcnt 0x2
	v_mul_f32_e32 v65, v39, v49
	v_mul_u32_u24_e32 v42, 0x480, v24
	s_wait_dscnt 0x1
	v_mul_f32_e32 v62, v47, v33
	v_mul_f32_e32 v47, v47, v32
	v_mul_lo_u16 v24, 0x90, v7
	v_add_co_u32 v52, s0, s8, v22
	s_wait_alu 0xf1ff
	v_add_co_ci_u32_e64 v53, s0, s9, v23, s0
	s_delay_alu instid0(VALU_DEP_3)
	v_sub_nc_u16 v4, v4, v24
	ds_load_2addr_stride64_b64 v[22:25], v0 offset0:6 offset1:9
	v_add3_u32 v57, 0, v42, v45
	v_add3_u32 v56, 0, v44, v56
	ds_load_2addr_stride64_b64 v[42:45], v0 offset1:3
	v_dual_mul_f32 v49, v38, v49 :: v_dual_and_b32 v4, 0xffff, v4
	s_wait_dscnt 0x2
	v_mul_f32_e32 v63, v15, v35
	v_dual_mul_f32 v15, v15, v34 :: v_dual_mul_f32 v64, v17, v29
	v_mul_f32_e32 v17, v17, v28
	s_wait_loadcnt 0x1
	v_dual_mul_f32 v66, v37, v19 :: v_dual_mul_f32 v67, v31, v21
	v_mul_f32_e32 v19, v36, v19
	s_wait_loadcnt 0x0
	v_dual_mul_f32 v21, v30, v21 :: v_dual_mul_f32 v68, v41, v51
	v_dual_mul_f32 v51, v40, v51 :: v_dual_fmac_f32 v62, v46, v32
	v_dual_fmac_f32 v63, v14, v34 :: v_dual_fmac_f32 v64, v16, v28
	s_delay_alu instid0(VALU_DEP_3)
	v_dual_fmac_f32 v65, v38, v48 :: v_dual_fmac_f32 v68, v40, v50
	s_wait_dscnt 0x1
	v_mul_f32_e32 v9, v11, v25
	v_dual_mul_f32 v11, v11, v24 :: v_dual_fmac_f32 v66, v36, v18
	v_lshlrev_b32_e32 v38, 3, v58
	v_mul_u32_u24_e32 v59, 3, v4
	s_delay_alu instid0(VALU_DEP_4) | instskip(NEXT) | instid1(VALU_DEP_4)
	v_fmac_f32_e32 v9, v10, v24
	v_fma_f32 v10, v10, v25, -v11
	v_fma_f32 v11, v12, v27, -v13
	v_fmac_f32_e32 v61, v12, v26
	v_fma_f32 v12, v46, v33, -v47
	v_fma_f32 v13, v14, v35, -v15
	;; [unrolled: 1-line block ×5, first 2 shown]
	v_fmac_f32_e32 v67, v30, v20
	v_fma_f32 v17, v31, v20, -v21
	s_wait_dscnt 0x0
	v_sub_f32_e32 v24, v45, v14
	v_fma_f32 v18, v41, v50, -v51
	v_dual_sub_f32 v20, v43, v11 :: v_dual_sub_f32 v19, v42, v61
	v_dual_sub_f32 v11, v9, v62 :: v_dual_sub_f32 v12, v10, v12
	;; [unrolled: 1-line block ×4, first 2 shown]
	v_sub_f32_e32 v25, v22, v67
	v_dual_sub_f32 v17, v66, v68 :: v_dual_sub_f32 v18, v16, v18
	v_fma_f32 v27, v42, 2.0, -v19
	v_fma_f32 v28, v43, 2.0, -v20
	;; [unrolled: 1-line block ×4, first 2 shown]
	v_dual_sub_f32 v10, v20, v11 :: v_dual_add_f32 v9, v19, v12
	v_fma_f32 v31, v44, 2.0, -v21
	v_fma_f32 v32, v45, 2.0, -v24
	;; [unrolled: 1-line block ×4, first 2 shown]
	v_sub_f32_e32 v12, v24, v14
	v_sub_f32_e32 v14, v26, v17
	v_fma_f32 v35, v22, 2.0, -v25
	v_fma_f32 v36, v23, 2.0, -v26
	;; [unrolled: 1-line block ×4, first 2 shown]
	v_dual_add_f32 v11, v21, v15 :: v_dual_sub_f32 v16, v28, v30
	v_sub_f32_e32 v15, v27, v29
	v_add_f32_e32 v13, v25, v18
	v_fma_f32 v17, v19, 2.0, -v9
	v_fma_f32 v18, v20, 2.0, -v10
	v_dual_sub_f32 v19, v31, v33 :: v_dual_sub_f32 v20, v32, v34
	v_fma_f32 v22, v24, 2.0, -v12
	v_dual_sub_f32 v23, v35, v23 :: v_dual_lshlrev_b32 v4, 3, v4
	v_sub_f32_e32 v24, v36, v37
	v_fma_f32 v27, v27, 2.0, -v15
	v_fma_f32 v28, v28, 2.0, -v16
	v_fma_f32 v21, v21, 2.0, -v11
	v_fma_f32 v29, v31, 2.0, -v19
	v_fma_f32 v30, v32, 2.0, -v20
	v_fma_f32 v25, v25, 2.0, -v13
	v_fma_f32 v26, v26, 2.0, -v14
	v_fma_f32 v31, v35, 2.0, -v23
	v_fma_f32 v32, v36, 2.0, -v24
	global_wb scope:SCOPE_SE
	s_barrier_signal -1
	s_barrier_wait -1
	global_inv scope:SCOPE_SE
	ds_store_2addr_b64 v57, v[15:16], v[9:10] offset0:72 offset1:108
	ds_store_2addr_b64 v57, v[27:28], v[17:18] offset1:36
	ds_store_2addr_b64 v60, v[29:30], v[21:22] offset1:36
	ds_store_2addr_b64 v60, v[19:20], v[11:12] offset0:72 offset1:108
	ds_store_2addr_b64 v56, v[31:32], v[25:26] offset1:36
	ds_store_2addr_b64 v56, v[23:24], v[13:14] offset0:72 offset1:108
	global_wb scope:SCOPE_SE
	s_wait_dscnt 0x0
	s_barrier_signal -1
	s_barrier_wait -1
	global_inv scope:SCOPE_SE
	global_load_b128 v[9:12], v[52:53], off offset:1104
	v_mul_u32_u24_e32 v18, 3, v55
	v_lshlrev_b32_e32 v17, 3, v59
	s_clause 0x1
	global_load_b64 v[45:46], v[52:53], off offset:1120
	global_load_b128 v[13:16], v17, s[8:9] offset:1104
	v_lshlrev_b32_e32 v21, 3, v18
	s_clause 0x2
	global_load_b64 v[47:48], v17, s[8:9] offset:1120
	global_load_b128 v[17:20], v21, s[8:9] offset:1104
	global_load_b64 v[49:50], v21, s[8:9] offset:1120
	ds_load_2addr_stride64_b64 v[25:28], v0 offset0:18 offset1:21
	v_cmp_lt_u32_e64 s0, 0x8f, v3
	v_mul_u32_u24_e32 v7, 0x1200, v7
	v_mul_u32_u24_e32 v39, 0x1200, v54
	v_lshlrev_b32_e32 v40, 3, v55
	ds_load_2addr_stride64_b64 v[21:24], v0 offset0:6 offset1:9
	s_wait_alu 0xf1ff
	v_cndmask_b32_e64 v37, 0, 0x1200, s0
	ds_load_2addr_stride64_b64 v[29:32], v0 offset0:24 offset1:27
	ds_load_2addr_stride64_b64 v[33:36], v0 offset0:12 offset1:15
	v_add3_u32 v4, 0, v7, v4
	v_mul_u32_u24_e32 v41, 3, v3
	v_add3_u32 v51, 0, v37, v38
	s_delay_alu instid0(VALU_DEP_2)
	v_lshlrev_b32_e32 v52, 3, v41
	ds_load_2addr_stride64_b64 v[41:44], v0 offset1:3
	v_add_nc_u32_e32 v53, 0x800, v51
	s_wait_loadcnt_dscnt 0x504
	v_mul_f32_e32 v57, v12, v26
	v_mul_f32_e32 v12, v12, v25
	v_add3_u32 v7, 0, v39, v40
	ds_load_2addr_stride64_b64 v[37:40], v0 offset0:30 offset1:33
	s_wait_dscnt 0x4
	v_mul_f32_e32 v56, v10, v24
	v_mul_f32_e32 v10, v10, v23
	s_wait_loadcnt_dscnt 0x403
	v_dual_mul_f32 v58, v46, v32 :: v_dual_add_nc_u32 v55, 0x800, v7
	s_wait_loadcnt_dscnt 0x302
	v_mul_f32_e32 v59, v14, v34
	v_mul_f32_e32 v46, v46, v31
	s_wait_loadcnt 0x1
	v_dual_mul_f32 v62, v36, v18 :: v_dual_mul_f32 v63, v30, v20
	v_mul_f32_e32 v60, v16, v28
	v_mul_f32_e32 v16, v16, v27
	v_dual_fmac_f32 v57, v11, v25 :: v_dual_add_nc_u32 v54, 0x800, v4
	v_fmac_f32_e32 v56, v9, v23
	v_fma_f32 v9, v9, v24, -v10
	v_fma_f32 v10, v11, v26, -v12
	v_fmac_f32_e32 v59, v13, v33
	v_fma_f32 v11, v45, v32, -v46
	v_dual_mul_f32 v18, v35, v18 :: v_dual_fmac_f32 v63, v29, v19
	s_wait_dscnt 0x0
	v_mul_f32_e32 v61, v38, v48
	v_mul_f32_e32 v14, v14, v33
	;; [unrolled: 1-line block ×3, first 2 shown]
	v_fmac_f32_e32 v60, v15, v27
	s_wait_loadcnt 0x0
	v_mul_f32_e32 v64, v40, v50
	v_dual_mul_f32 v50, v39, v50 :: v_dual_sub_f32 v25, v21, v63
	v_fmac_f32_e32 v61, v37, v47
	v_mul_f32_e32 v20, v29, v20
	v_fma_f32 v12, v13, v34, -v14
	v_fma_f32 v13, v15, v28, -v16
	v_sub_f32_e32 v11, v9, v11
	v_fma_f32 v15, v36, v17, -v18
	v_sub_f32_e32 v18, v41, v57
	v_fmac_f32_e32 v62, v35, v17
	v_fma_f32 v17, v40, v49, -v50
	v_sub_f32_e32 v24, v44, v13
	v_sub_f32_e32 v13, v59, v61
	v_fma_f32 v16, v30, v19, -v20
	v_sub_f32_e32 v19, v42, v10
	v_fma_f32 v14, v38, v47, -v48
	v_sub_f32_e32 v17, v15, v17
	v_fma_f32 v32, v59, 2.0, -v13
	v_fma_f32 v29, v9, 2.0, -v11
	s_delay_alu instid0(VALU_DEP_4)
	v_dual_add_f32 v9, v18, v11 :: v_dual_sub_f32 v14, v12, v14
	v_fma_f32 v34, v21, 2.0, -v25
	v_fma_f32 v27, v41, 2.0, -v18
	v_sub_f32_e32 v26, v22, v16
	v_fma_f32 v28, v42, 2.0, -v19
	v_fma_f32 v33, v12, 2.0, -v14
	v_sub_f32_e32 v12, v24, v13
	v_add_f32_e32 v13, v25, v17
	v_dual_sub_f32 v23, v43, v60 :: v_dual_fmac_f32 v58, v45, v31
	v_fma_f32 v37, v15, 2.0, -v17
	v_fma_f32 v31, v44, 2.0, -v24
	;; [unrolled: 1-line block ×3, first 2 shown]
	s_delay_alu instid0(VALU_DEP_4)
	v_add_f32_e32 v11, v23, v14
	v_sub_f32_e32 v10, v56, v58
	v_fma_f32 v30, v43, 2.0, -v23
	v_fmac_f32_e32 v64, v39, v49
	v_fma_f32 v22, v24, 2.0, -v12
	v_fma_f32 v21, v23, 2.0, -v11
	;; [unrolled: 1-line block ×3, first 2 shown]
	v_sub_f32_e32 v10, v19, v10
	v_sub_f32_e32 v24, v35, v37
	v_fma_f32 v25, v25, 2.0, -v13
	global_wb scope:SCOPE_SE
	v_sub_f32_e32 v15, v27, v20
	v_fma_f32 v17, v18, 2.0, -v9
	v_fma_f32 v18, v19, 2.0, -v10
	v_sub_f32_e32 v19, v30, v32
	v_sub_f32_e32 v16, v62, v64
	;; [unrolled: 1-line block ×3, first 2 shown]
	v_fma_f32 v27, v27, 2.0, -v15
	v_fma_f32 v32, v35, 2.0, -v24
	s_barrier_signal -1
	v_fma_f32 v36, v62, 2.0, -v16
	v_sub_f32_e32 v14, v26, v16
	v_sub_f32_e32 v16, v28, v29
	v_fma_f32 v29, v30, 2.0, -v19
	v_fma_f32 v30, v31, 2.0, -v20
	v_sub_f32_e32 v23, v34, v36
	v_fma_f32 v26, v26, 2.0, -v14
	v_fma_f32 v28, v28, 2.0, -v16
	s_barrier_wait -1
	global_inv scope:SCOPE_SE
	v_fma_f32 v31, v34, 2.0, -v23
	ds_store_2addr_b64 v53, v[15:16], v[9:10] offset0:32 offset1:176
	ds_store_2addr_b64 v51, v[27:28], v[17:18] offset1:144
	ds_store_2addr_b64 v4, v[29:30], v[21:22] offset1:144
	ds_store_2addr_b64 v54, v[19:20], v[11:12] offset0:32 offset1:176
	ds_store_2addr_b64 v7, v[31:32], v[25:26] offset1:144
	ds_store_2addr_b64 v55, v[23:24], v[13:14] offset0:32 offset1:176
	global_wb scope:SCOPE_SE
	s_wait_dscnt 0x0
	s_barrier_signal -1
	s_barrier_wait -1
	global_inv scope:SCOPE_SE
	s_clause 0x5
	global_load_b128 v[9:12], v52, s[8:9] offset:4560
	global_load_b64 v[45:46], v52, s[8:9] offset:4576
	global_load_b128 v[13:16], v52, s[8:9] offset:9168
	global_load_b64 v[47:48], v52, s[8:9] offset:9184
	;; [unrolled: 2-line block ×3, first 2 shown]
	ds_load_2addr_stride64_b64 v[21:24], v0 offset0:6 offset1:9
	ds_load_2addr_stride64_b64 v[25:28], v0 offset0:18 offset1:21
	;; [unrolled: 1-line block ×5, first 2 shown]
	ds_load_2addr_stride64_b64 v[41:44], v0 offset1:3
	global_wb scope:SCOPE_SE
	s_wait_loadcnt_dscnt 0x0
	s_barrier_signal -1
	s_barrier_wait -1
	global_inv scope:SCOPE_SE
	v_mul_f32_e32 v7, v10, v23
	v_mul_f32_e32 v51, v46, v32
	;; [unrolled: 1-line block ×3, first 2 shown]
	v_dual_mul_f32 v55, v36, v18 :: v_dual_mul_f32 v4, v10, v24
	s_delay_alu instid0(VALU_DEP_2) | instskip(SKIP_1) | instid1(VALU_DEP_3)
	v_dual_mul_f32 v56, v30, v20 :: v_dual_fmac_f32 v53, v15, v27
	v_dual_mul_f32 v46, v46, v31 :: v_dual_mul_f32 v57, v40, v50
	v_dual_mul_f32 v10, v12, v26 :: v_dual_fmac_f32 v55, v35, v17
	s_delay_alu instid0(VALU_DEP_4) | instskip(NEXT) | instid1(VALU_DEP_3)
	v_fmac_f32_e32 v4, v9, v23
	v_dual_fmac_f32 v56, v29, v19 :: v_dual_fmac_f32 v57, v39, v49
	v_mul_f32_e32 v12, v12, v25
	v_dual_sub_f32 v23, v43, v53 :: v_dual_mul_f32 v52, v14, v34
	v_mul_f32_e32 v20, v29, v20
	v_fma_f32 v7, v9, v24, -v7
	v_dual_fmac_f32 v10, v11, v25 :: v_dual_sub_f32 v25, v21, v56
	v_mul_f32_e32 v14, v14, v33
	v_fma_f32 v9, v11, v26, -v12
	v_mul_f32_e32 v16, v16, v27
	v_fma_f32 v11, v45, v32, -v46
	v_fma_f32 v29, v43, 2.0, -v23
	v_mul_f32_e32 v18, v35, v18
	v_fmac_f32_e32 v52, v13, v33
	v_fma_f32 v12, v13, v34, -v14
	v_fma_f32 v13, v15, v28, -v16
	;; [unrolled: 1-line block ×4, first 2 shown]
	v_dual_sub_f32 v18, v41, v10 :: v_dual_sub_f32 v19, v42, v9
	v_sub_f32_e32 v9, v7, v11
	v_fma_f32 v32, v21, 2.0, -v25
	v_mul_f32_e32 v54, v38, v48
	v_mul_f32_e32 v48, v37, v48
	;; [unrolled: 1-line block ×3, first 2 shown]
	v_fma_f32 v7, v7, 2.0, -v9
	v_add_f32_e32 v9, v18, v9
	v_fmac_f32_e32 v51, v45, v31
	v_fma_f32 v14, v38, v47, -v48
	v_fma_f32 v17, v40, v49, -v50
	v_sub_f32_e32 v26, v22, v16
	v_fma_f32 v27, v41, 2.0, -v18
	v_sub_f32_e32 v10, v4, v51
	v_dual_sub_f32 v11, v12, v14 :: v_dual_sub_f32 v14, v55, v57
	v_sub_f32_e32 v16, v15, v17
	v_sub_f32_e32 v24, v44, v13
	s_delay_alu instid0(VALU_DEP_4) | instskip(NEXT) | instid1(VALU_DEP_4)
	v_fma_f32 v4, v4, 2.0, -v10
	v_fma_f32 v31, v12, 2.0, -v11
	v_add_f32_e32 v11, v23, v11
	v_fma_f32 v34, v55, 2.0, -v14
	v_fma_f32 v35, v15, 2.0, -v16
	v_sub_f32_e32 v15, v27, v4
	v_fma_f32 v28, v42, 2.0, -v19
	v_fma_f32 v21, v23, 2.0, -v11
	v_dual_sub_f32 v23, v32, v34 :: v_dual_fmac_f32 v54, v37, v47
	v_sub_f32_e32 v10, v19, v10
	v_fma_f32 v30, v44, 2.0, -v24
	v_fma_f32 v33, v22, 2.0, -v26
	v_sub_f32_e32 v14, v26, v14
	v_sub_f32_e32 v13, v52, v54
	v_fma_f32 v17, v18, 2.0, -v9
	v_fma_f32 v18, v19, 2.0, -v10
	s_delay_alu instid0(VALU_DEP_4) | instskip(NEXT) | instid1(VALU_DEP_4)
	v_fma_f32 v26, v26, 2.0, -v14
	v_fma_f32 v20, v52, 2.0, -v13
	v_dual_sub_f32 v12, v24, v13 :: v_dual_add_f32 v13, v25, v16
	s_delay_alu instid0(VALU_DEP_2) | instskip(SKIP_1) | instid1(VALU_DEP_3)
	v_dual_sub_f32 v16, v28, v7 :: v_dual_sub_f32 v19, v29, v20
	v_sub_f32_e32 v20, v30, v31
	v_fma_f32 v22, v24, 2.0, -v12
	v_sub_f32_e32 v24, v33, v35
	v_fma_f32 v25, v25, 2.0, -v13
	ds_store_2addr_stride64_b64 v0, v[11:12], v[13:14] offset0:30 offset1:33
	v_fma_f32 v11, v27, 2.0, -v15
	v_fma_f32 v12, v28, 2.0, -v16
	;; [unrolled: 1-line block ×6, first 2 shown]
	ds_store_2addr_stride64_b64 v0, v[15:16], v[19:20] offset0:18 offset1:21
	ds_store_2addr_stride64_b64 v0, v[21:22], v[25:26] offset0:12 offset1:15
	;; [unrolled: 1-line block ×3, first 2 shown]
	ds_store_2addr_stride64_b64 v0, v[11:12], v[13:14] offset1:3
	ds_store_2addr_stride64_b64 v0, v[27:28], v[17:18] offset0:6 offset1:9
	global_wb scope:SCOPE_SE
	s_wait_dscnt 0x0
	s_barrier_signal -1
	s_barrier_wait -1
	global_inv scope:SCOPE_SE
	s_and_saveexec_b32 s0, vcc_lo
	s_cbranch_execz .LBB0_21
; %bb.20:
	v_mul_lo_u32 v0, s3, v5
	v_mul_lo_u32 v4, s2, v6
	v_mad_co_u64_u32 v[5:6], null, s2, v5, 0
	v_lshl_add_u32 v23, v3, 3, 0
	v_add_nc_u32_e32 v7, 0xc0, v3
	ds_load_2addr_stride64_b64 v[9:12], v23 offset1:3
	v_add3_u32 v6, v6, v4, v0
	v_mov_b32_e32 v4, v8
	v_lshlrev_b64_e32 v[0:1], 3, v[1:2]
	v_lshlrev_b64_e32 v[19:20], 3, v[7:8]
	v_add_nc_u32_e32 v7, 0x180, v3
	v_lshlrev_b64_e32 v[5:6], 3, v[5:6]
	v_lshlrev_b64_e32 v[17:18], 3, v[3:4]
	ds_load_2addr_stride64_b64 v[13:16], v23 offset0:6 offset1:9
	v_add_co_u32 v2, vcc_lo, s6, v5
	s_wait_alu 0xfffd
	v_add_co_ci_u32_e32 v6, vcc_lo, s7, v6, vcc_lo
	v_lshlrev_b64_e32 v[4:5], 3, v[7:8]
	s_delay_alu instid0(VALU_DEP_3) | instskip(SKIP_1) | instid1(VALU_DEP_3)
	v_add_co_u32 v35, vcc_lo, v2, v0
	s_wait_alu 0xfffd
	v_add_co_ci_u32_e32 v36, vcc_lo, v6, v1, vcc_lo
	v_add_nc_u32_e32 v7, 0x240, v3
	s_delay_alu instid0(VALU_DEP_3) | instskip(SKIP_1) | instid1(VALU_DEP_3)
	v_add_co_u32 v0, vcc_lo, v35, v17
	s_wait_alu 0xfffd
	v_add_co_ci_u32_e32 v1, vcc_lo, v36, v18, vcc_lo
	v_add_co_u32 v17, vcc_lo, v35, v19
	s_wait_alu 0xfffd
	v_add_co_ci_u32_e32 v18, vcc_lo, v36, v20, vcc_lo
	v_lshlrev_b64_e32 v[19:20], 3, v[7:8]
	v_add_nc_u32_e32 v7, 0x300, v3
	v_add_co_u32 v4, vcc_lo, v35, v4
	s_wait_alu 0xfffd
	v_add_co_ci_u32_e32 v5, vcc_lo, v36, v5, vcc_lo
	s_delay_alu instid0(VALU_DEP_3)
	v_lshlrev_b64_e32 v[21:22], 3, v[7:8]
	v_add_nc_u32_e32 v7, 0x3c0, v3
	v_add_co_u32 v19, vcc_lo, v35, v19
	s_wait_alu 0xfffd
	v_add_co_ci_u32_e32 v20, vcc_lo, v36, v20, vcc_lo
	s_wait_dscnt 0x1
	s_clause 0x1
	global_store_b64 v[0:1], v[9:10], off
	global_store_b64 v[17:18], v[11:12], off
	s_wait_dscnt 0x0
	s_clause 0x1
	global_store_b64 v[4:5], v[13:14], off
	global_store_b64 v[19:20], v[15:16], off
	v_lshlrev_b64_e32 v[0:1], 3, v[7:8]
	v_add_nc_u32_e32 v7, 0x480, v3
	v_add_co_u32 v4, vcc_lo, v35, v21
	s_wait_alu 0xfffd
	v_add_co_ci_u32_e32 v5, vcc_lo, v36, v22, vcc_lo
	s_delay_alu instid0(VALU_DEP_3) | instskip(SKIP_4) | instid1(VALU_DEP_3)
	v_lshlrev_b64_e32 v[17:18], 3, v[7:8]
	v_add_nc_u32_e32 v7, 0x540, v3
	v_add_co_u32 v0, vcc_lo, v35, v0
	s_wait_alu 0xfffd
	v_add_co_ci_u32_e32 v1, vcc_lo, v36, v1, vcc_lo
	v_lshlrev_b64_e32 v[19:20], 3, v[7:8]
	v_add_nc_u32_e32 v7, 0x600, v3
	v_add_co_u32 v25, vcc_lo, v35, v17
	ds_load_2addr_stride64_b64 v[9:12], v23 offset0:12 offset1:15
	s_wait_alu 0xfffd
	v_add_co_ci_u32_e32 v26, vcc_lo, v36, v18, vcc_lo
	v_lshlrev_b64_e32 v[21:22], 3, v[7:8]
	v_add_nc_u32_e32 v7, 0x6c0, v3
	v_add_co_u32 v27, vcc_lo, v35, v19
	ds_load_2addr_stride64_b64 v[13:16], v23 offset0:18 offset1:21
	s_wait_alu 0xfffd
	v_add_co_ci_u32_e32 v28, vcc_lo, v36, v20, vcc_lo
	v_lshlrev_b64_e32 v[29:30], 3, v[7:8]
	v_add_nc_u32_e32 v7, 0x780, v3
	ds_load_2addr_stride64_b64 v[17:20], v23 offset0:24 offset1:27
	v_add_co_u32 v31, vcc_lo, v35, v21
	s_wait_alu 0xfffd
	v_add_co_ci_u32_e32 v32, vcc_lo, v36, v22, vcc_lo
	ds_load_2addr_stride64_b64 v[21:24], v23 offset0:30 offset1:33
	v_lshlrev_b64_e32 v[33:34], 3, v[7:8]
	v_add_nc_u32_e32 v7, 0x840, v3
	v_add_co_u32 v2, vcc_lo, v35, v29
	s_wait_alu 0xfffd
	v_add_co_ci_u32_e32 v3, vcc_lo, v36, v30, vcc_lo
	s_delay_alu instid0(VALU_DEP_3) | instskip(SKIP_3) | instid1(VALU_DEP_3)
	v_lshlrev_b64_e32 v[6:7], 3, v[7:8]
	v_add_co_u32 v29, vcc_lo, v35, v33
	s_wait_alu 0xfffd
	v_add_co_ci_u32_e32 v30, vcc_lo, v36, v34, vcc_lo
	v_add_co_u32 v6, vcc_lo, v35, v6
	s_wait_alu 0xfffd
	v_add_co_ci_u32_e32 v7, vcc_lo, v36, v7, vcc_lo
	s_wait_dscnt 0x3
	s_clause 0x1
	global_store_b64 v[4:5], v[9:10], off
	global_store_b64 v[0:1], v[11:12], off
	s_wait_dscnt 0x2
	s_clause 0x1
	global_store_b64 v[25:26], v[13:14], off
	global_store_b64 v[27:28], v[15:16], off
	;; [unrolled: 4-line block ×4, first 2 shown]
.LBB0_21:
	s_nop 0
	s_sendmsg sendmsg(MSG_DEALLOC_VGPRS)
	s_endpgm
	.section	.rodata,"a",@progbits
	.p2align	6, 0x0
	.amdhsa_kernel fft_rtc_back_len2304_factors_6_6_4_4_4_wgs_192_tpt_192_halfLds_sp_op_CI_CI_unitstride_sbrr_C2R_dirReg
		.amdhsa_group_segment_fixed_size 0
		.amdhsa_private_segment_fixed_size 0
		.amdhsa_kernarg_size 104
		.amdhsa_user_sgpr_count 2
		.amdhsa_user_sgpr_dispatch_ptr 0
		.amdhsa_user_sgpr_queue_ptr 0
		.amdhsa_user_sgpr_kernarg_segment_ptr 1
		.amdhsa_user_sgpr_dispatch_id 0
		.amdhsa_user_sgpr_private_segment_size 0
		.amdhsa_wavefront_size32 1
		.amdhsa_uses_dynamic_stack 0
		.amdhsa_enable_private_segment 0
		.amdhsa_system_sgpr_workgroup_id_x 1
		.amdhsa_system_sgpr_workgroup_id_y 0
		.amdhsa_system_sgpr_workgroup_id_z 0
		.amdhsa_system_sgpr_workgroup_info 0
		.amdhsa_system_vgpr_workitem_id 0
		.amdhsa_next_free_vgpr 74
		.amdhsa_next_free_sgpr 39
		.amdhsa_reserve_vcc 1
		.amdhsa_float_round_mode_32 0
		.amdhsa_float_round_mode_16_64 0
		.amdhsa_float_denorm_mode_32 3
		.amdhsa_float_denorm_mode_16_64 3
		.amdhsa_fp16_overflow 0
		.amdhsa_workgroup_processor_mode 1
		.amdhsa_memory_ordered 1
		.amdhsa_forward_progress 0
		.amdhsa_round_robin_scheduling 0
		.amdhsa_exception_fp_ieee_invalid_op 0
		.amdhsa_exception_fp_denorm_src 0
		.amdhsa_exception_fp_ieee_div_zero 0
		.amdhsa_exception_fp_ieee_overflow 0
		.amdhsa_exception_fp_ieee_underflow 0
		.amdhsa_exception_fp_ieee_inexact 0
		.amdhsa_exception_int_div_zero 0
	.end_amdhsa_kernel
	.text
.Lfunc_end0:
	.size	fft_rtc_back_len2304_factors_6_6_4_4_4_wgs_192_tpt_192_halfLds_sp_op_CI_CI_unitstride_sbrr_C2R_dirReg, .Lfunc_end0-fft_rtc_back_len2304_factors_6_6_4_4_4_wgs_192_tpt_192_halfLds_sp_op_CI_CI_unitstride_sbrr_C2R_dirReg
                                        ; -- End function
	.section	.AMDGPU.csdata,"",@progbits
; Kernel info:
; codeLenInByte = 8148
; NumSgprs: 41
; NumVgprs: 74
; ScratchSize: 0
; MemoryBound: 0
; FloatMode: 240
; IeeeMode: 1
; LDSByteSize: 0 bytes/workgroup (compile time only)
; SGPRBlocks: 5
; VGPRBlocks: 9
; NumSGPRsForWavesPerEU: 41
; NumVGPRsForWavesPerEU: 74
; Occupancy: 15
; WaveLimiterHint : 1
; COMPUTE_PGM_RSRC2:SCRATCH_EN: 0
; COMPUTE_PGM_RSRC2:USER_SGPR: 2
; COMPUTE_PGM_RSRC2:TRAP_HANDLER: 0
; COMPUTE_PGM_RSRC2:TGID_X_EN: 1
; COMPUTE_PGM_RSRC2:TGID_Y_EN: 0
; COMPUTE_PGM_RSRC2:TGID_Z_EN: 0
; COMPUTE_PGM_RSRC2:TIDIG_COMP_CNT: 0
	.text
	.p2alignl 7, 3214868480
	.fill 96, 4, 3214868480
	.type	__hip_cuid_a488c5c14f432fea,@object ; @__hip_cuid_a488c5c14f432fea
	.section	.bss,"aw",@nobits
	.globl	__hip_cuid_a488c5c14f432fea
__hip_cuid_a488c5c14f432fea:
	.byte	0                               ; 0x0
	.size	__hip_cuid_a488c5c14f432fea, 1

	.ident	"AMD clang version 19.0.0git (https://github.com/RadeonOpenCompute/llvm-project roc-6.4.0 25133 c7fe45cf4b819c5991fe208aaa96edf142730f1d)"
	.section	".note.GNU-stack","",@progbits
	.addrsig
	.addrsig_sym __hip_cuid_a488c5c14f432fea
	.amdgpu_metadata
---
amdhsa.kernels:
  - .args:
      - .actual_access:  read_only
        .address_space:  global
        .offset:         0
        .size:           8
        .value_kind:     global_buffer
      - .offset:         8
        .size:           8
        .value_kind:     by_value
      - .actual_access:  read_only
        .address_space:  global
        .offset:         16
        .size:           8
        .value_kind:     global_buffer
      - .actual_access:  read_only
        .address_space:  global
        .offset:         24
        .size:           8
        .value_kind:     global_buffer
      - .actual_access:  read_only
        .address_space:  global
        .offset:         32
        .size:           8
        .value_kind:     global_buffer
      - .offset:         40
        .size:           8
        .value_kind:     by_value
      - .actual_access:  read_only
        .address_space:  global
        .offset:         48
        .size:           8
        .value_kind:     global_buffer
      - .actual_access:  read_only
        .address_space:  global
        .offset:         56
        .size:           8
        .value_kind:     global_buffer
      - .offset:         64
        .size:           4
        .value_kind:     by_value
      - .actual_access:  read_only
        .address_space:  global
        .offset:         72
        .size:           8
        .value_kind:     global_buffer
      - .actual_access:  read_only
        .address_space:  global
        .offset:         80
        .size:           8
        .value_kind:     global_buffer
      - .actual_access:  read_only
        .address_space:  global
        .offset:         88
        .size:           8
        .value_kind:     global_buffer
      - .actual_access:  write_only
        .address_space:  global
        .offset:         96
        .size:           8
        .value_kind:     global_buffer
    .group_segment_fixed_size: 0
    .kernarg_segment_align: 8
    .kernarg_segment_size: 104
    .language:       OpenCL C
    .language_version:
      - 2
      - 0
    .max_flat_workgroup_size: 192
    .name:           fft_rtc_back_len2304_factors_6_6_4_4_4_wgs_192_tpt_192_halfLds_sp_op_CI_CI_unitstride_sbrr_C2R_dirReg
    .private_segment_fixed_size: 0
    .sgpr_count:     41
    .sgpr_spill_count: 0
    .symbol:         fft_rtc_back_len2304_factors_6_6_4_4_4_wgs_192_tpt_192_halfLds_sp_op_CI_CI_unitstride_sbrr_C2R_dirReg.kd
    .uniform_work_group_size: 1
    .uses_dynamic_stack: false
    .vgpr_count:     74
    .vgpr_spill_count: 0
    .wavefront_size: 32
    .workgroup_processor_mode: 1
amdhsa.target:   amdgcn-amd-amdhsa--gfx1201
amdhsa.version:
  - 1
  - 2
...

	.end_amdgpu_metadata
